;; amdgpu-corpus repo=ROCm/rocFFT kind=compiled arch=gfx906 opt=O3
	.text
	.amdgcn_target "amdgcn-amd-amdhsa--gfx906"
	.amdhsa_code_object_version 6
	.protected	fft_rtc_fwd_len2500_factors_10_5_10_5_wgs_250_tpt_250_halfLds_dp_op_CI_CI_unitstride_sbrr_R2C_dirReg ; -- Begin function fft_rtc_fwd_len2500_factors_10_5_10_5_wgs_250_tpt_250_halfLds_dp_op_CI_CI_unitstride_sbrr_R2C_dirReg
	.globl	fft_rtc_fwd_len2500_factors_10_5_10_5_wgs_250_tpt_250_halfLds_dp_op_CI_CI_unitstride_sbrr_R2C_dirReg
	.p2align	8
	.type	fft_rtc_fwd_len2500_factors_10_5_10_5_wgs_250_tpt_250_halfLds_dp_op_CI_CI_unitstride_sbrr_R2C_dirReg,@function
fft_rtc_fwd_len2500_factors_10_5_10_5_wgs_250_tpt_250_halfLds_dp_op_CI_CI_unitstride_sbrr_R2C_dirReg: ; @fft_rtc_fwd_len2500_factors_10_5_10_5_wgs_250_tpt_250_halfLds_dp_op_CI_CI_unitstride_sbrr_R2C_dirReg
; %bb.0:
	s_load_dwordx4 s[8:11], s[4:5], 0x58
	s_load_dwordx4 s[12:15], s[4:5], 0x0
	;; [unrolled: 1-line block ×3, first 2 shown]
	v_mul_u32_u24_e32 v1, 0x107, v0
	v_add_u32_sdwa v5, s6, v1 dst_sel:DWORD dst_unused:UNUSED_PAD src0_sel:DWORD src1_sel:WORD_1
	v_mov_b32_e32 v3, 0
	s_waitcnt lgkmcnt(0)
	v_cmp_lt_u64_e64 s[0:1], s[14:15], 2
	v_mov_b32_e32 v1, 0
	v_mov_b32_e32 v6, v3
	s_and_b64 vcc, exec, s[0:1]
	v_mov_b32_e32 v2, 0
	s_cbranch_vccnz .LBB0_8
; %bb.1:
	s_load_dwordx2 s[0:1], s[4:5], 0x10
	s_add_u32 s2, s18, 8
	s_addc_u32 s3, s19, 0
	s_add_u32 s6, s16, 8
	v_mov_b32_e32 v1, 0
	s_addc_u32 s7, s17, 0
	v_mov_b32_e32 v2, 0
	s_waitcnt lgkmcnt(0)
	s_add_u32 s20, s0, 8
	v_mov_b32_e32 v9, v2
	s_addc_u32 s21, s1, 0
	s_mov_b64 s[22:23], 1
	v_mov_b32_e32 v8, v1
.LBB0_2:                                ; =>This Inner Loop Header: Depth=1
	s_load_dwordx2 s[24:25], s[20:21], 0x0
                                        ; implicit-def: $vgpr12_vgpr13
	s_waitcnt lgkmcnt(0)
	v_or_b32_e32 v4, s25, v6
	v_cmp_ne_u64_e32 vcc, 0, v[3:4]
	s_and_saveexec_b64 s[0:1], vcc
	s_xor_b64 s[26:27], exec, s[0:1]
	s_cbranch_execz .LBB0_4
; %bb.3:                                ;   in Loop: Header=BB0_2 Depth=1
	v_cvt_f32_u32_e32 v4, s24
	v_cvt_f32_u32_e32 v7, s25
	s_sub_u32 s0, 0, s24
	s_subb_u32 s1, 0, s25
	v_mac_f32_e32 v4, 0x4f800000, v7
	v_rcp_f32_e32 v4, v4
	v_mul_f32_e32 v4, 0x5f7ffffc, v4
	v_mul_f32_e32 v7, 0x2f800000, v4
	v_trunc_f32_e32 v7, v7
	v_mac_f32_e32 v4, 0xcf800000, v7
	v_cvt_u32_f32_e32 v7, v7
	v_cvt_u32_f32_e32 v4, v4
	v_mul_lo_u32 v10, s0, v7
	v_mul_hi_u32 v11, s0, v4
	v_mul_lo_u32 v13, s1, v4
	v_mul_lo_u32 v12, s0, v4
	v_add_u32_e32 v10, v11, v10
	v_add_u32_e32 v10, v10, v13
	v_mul_hi_u32 v11, v4, v12
	v_mul_lo_u32 v13, v4, v10
	v_mul_hi_u32 v15, v4, v10
	v_mul_hi_u32 v14, v7, v12
	v_mul_lo_u32 v12, v7, v12
	v_mul_hi_u32 v16, v7, v10
	v_add_co_u32_e32 v11, vcc, v11, v13
	v_addc_co_u32_e32 v13, vcc, 0, v15, vcc
	v_mul_lo_u32 v10, v7, v10
	v_add_co_u32_e32 v11, vcc, v11, v12
	v_addc_co_u32_e32 v11, vcc, v13, v14, vcc
	v_addc_co_u32_e32 v12, vcc, 0, v16, vcc
	v_add_co_u32_e32 v10, vcc, v11, v10
	v_addc_co_u32_e32 v11, vcc, 0, v12, vcc
	v_add_co_u32_e32 v4, vcc, v4, v10
	v_addc_co_u32_e32 v7, vcc, v7, v11, vcc
	v_mul_lo_u32 v10, s0, v7
	v_mul_hi_u32 v11, s0, v4
	v_mul_lo_u32 v12, s1, v4
	v_mul_lo_u32 v13, s0, v4
	v_add_u32_e32 v10, v11, v10
	v_add_u32_e32 v10, v10, v12
	v_mul_lo_u32 v14, v4, v10
	v_mul_hi_u32 v15, v4, v13
	v_mul_hi_u32 v16, v4, v10
	v_mul_hi_u32 v12, v7, v13
	v_mul_lo_u32 v13, v7, v13
	v_mul_hi_u32 v11, v7, v10
	v_add_co_u32_e32 v14, vcc, v15, v14
	v_addc_co_u32_e32 v15, vcc, 0, v16, vcc
	v_mul_lo_u32 v10, v7, v10
	v_add_co_u32_e32 v13, vcc, v14, v13
	v_addc_co_u32_e32 v12, vcc, v15, v12, vcc
	v_addc_co_u32_e32 v11, vcc, 0, v11, vcc
	v_add_co_u32_e32 v10, vcc, v12, v10
	v_addc_co_u32_e32 v11, vcc, 0, v11, vcc
	v_add_co_u32_e32 v4, vcc, v4, v10
	v_addc_co_u32_e32 v7, vcc, v7, v11, vcc
	v_mad_u64_u32 v[10:11], s[0:1], v5, v7, 0
	v_mul_hi_u32 v12, v5, v4
	v_add_co_u32_e32 v14, vcc, v12, v10
	v_addc_co_u32_e32 v15, vcc, 0, v11, vcc
	v_mad_u64_u32 v[10:11], s[0:1], v6, v4, 0
	v_mad_u64_u32 v[12:13], s[0:1], v6, v7, 0
	v_add_co_u32_e32 v4, vcc, v14, v10
	v_addc_co_u32_e32 v4, vcc, v15, v11, vcc
	v_addc_co_u32_e32 v7, vcc, 0, v13, vcc
	v_add_co_u32_e32 v4, vcc, v4, v12
	v_addc_co_u32_e32 v7, vcc, 0, v7, vcc
	v_mul_lo_u32 v12, s25, v4
	v_mul_lo_u32 v13, s24, v7
	v_mad_u64_u32 v[10:11], s[0:1], s24, v4, 0
	v_add3_u32 v11, v11, v13, v12
	v_sub_u32_e32 v12, v6, v11
	v_mov_b32_e32 v13, s25
	v_sub_co_u32_e32 v10, vcc, v5, v10
	v_subb_co_u32_e64 v12, s[0:1], v12, v13, vcc
	v_subrev_co_u32_e64 v13, s[0:1], s24, v10
	v_subbrev_co_u32_e64 v12, s[0:1], 0, v12, s[0:1]
	v_cmp_le_u32_e64 s[0:1], s25, v12
	v_cndmask_b32_e64 v14, 0, -1, s[0:1]
	v_cmp_le_u32_e64 s[0:1], s24, v13
	v_cndmask_b32_e64 v13, 0, -1, s[0:1]
	v_cmp_eq_u32_e64 s[0:1], s25, v12
	v_cndmask_b32_e64 v12, v14, v13, s[0:1]
	v_add_co_u32_e64 v14, s[0:1], 2, v4
	v_addc_co_u32_e64 v13, s[0:1], 0, v7, s[0:1]
	v_add_co_u32_e64 v15, s[0:1], 1, v4
	v_addc_co_u32_e64 v16, s[0:1], 0, v7, s[0:1]
	v_subb_co_u32_e32 v11, vcc, v6, v11, vcc
	v_cmp_ne_u32_e64 s[0:1], 0, v12
	v_cmp_le_u32_e32 vcc, s25, v11
	v_cndmask_b32_e64 v12, v16, v13, s[0:1]
	v_cndmask_b32_e64 v13, 0, -1, vcc
	v_cmp_le_u32_e32 vcc, s24, v10
	v_cndmask_b32_e64 v10, 0, -1, vcc
	v_cmp_eq_u32_e32 vcc, s25, v11
	v_cndmask_b32_e32 v10, v13, v10, vcc
	v_cmp_ne_u32_e32 vcc, 0, v10
	v_cndmask_b32_e32 v13, v7, v12, vcc
	v_cndmask_b32_e64 v7, v15, v14, s[0:1]
	v_cndmask_b32_e32 v12, v4, v7, vcc
.LBB0_4:                                ;   in Loop: Header=BB0_2 Depth=1
	s_andn2_saveexec_b64 s[0:1], s[26:27]
	s_cbranch_execz .LBB0_6
; %bb.5:                                ;   in Loop: Header=BB0_2 Depth=1
	v_cvt_f32_u32_e32 v4, s24
	s_sub_i32 s26, 0, s24
	v_mov_b32_e32 v13, v3
	v_rcp_iflag_f32_e32 v4, v4
	v_mul_f32_e32 v4, 0x4f7ffffe, v4
	v_cvt_u32_f32_e32 v4, v4
	v_mul_lo_u32 v7, s26, v4
	v_mul_hi_u32 v7, v4, v7
	v_add_u32_e32 v4, v4, v7
	v_mul_hi_u32 v4, v5, v4
	v_mul_lo_u32 v7, v4, s24
	v_add_u32_e32 v10, 1, v4
	v_sub_u32_e32 v7, v5, v7
	v_subrev_u32_e32 v11, s24, v7
	v_cmp_le_u32_e32 vcc, s24, v7
	v_cndmask_b32_e32 v7, v7, v11, vcc
	v_cndmask_b32_e32 v4, v4, v10, vcc
	v_add_u32_e32 v10, 1, v4
	v_cmp_le_u32_e32 vcc, s24, v7
	v_cndmask_b32_e32 v12, v4, v10, vcc
.LBB0_6:                                ;   in Loop: Header=BB0_2 Depth=1
	s_or_b64 exec, exec, s[0:1]
	v_mul_lo_u32 v4, v13, s24
	v_mul_lo_u32 v7, v12, s25
	v_mad_u64_u32 v[10:11], s[0:1], v12, s24, 0
	s_load_dwordx2 s[0:1], s[6:7], 0x0
	s_load_dwordx2 s[24:25], s[2:3], 0x0
	v_add3_u32 v4, v11, v7, v4
	v_sub_co_u32_e32 v5, vcc, v5, v10
	v_subb_co_u32_e32 v4, vcc, v6, v4, vcc
	s_waitcnt lgkmcnt(0)
	v_mul_lo_u32 v6, s0, v4
	v_mul_lo_u32 v7, s1, v5
	v_mad_u64_u32 v[1:2], s[0:1], s0, v5, v[1:2]
	v_mul_lo_u32 v4, s24, v4
	v_mul_lo_u32 v10, s25, v5
	v_mad_u64_u32 v[8:9], s[0:1], s24, v5, v[8:9]
	s_add_u32 s22, s22, 1
	s_addc_u32 s23, s23, 0
	s_add_u32 s2, s2, 8
	v_add3_u32 v9, v10, v9, v4
	s_addc_u32 s3, s3, 0
	v_mov_b32_e32 v4, s14
	s_add_u32 s6, s6, 8
	v_mov_b32_e32 v5, s15
	s_addc_u32 s7, s7, 0
	v_cmp_ge_u64_e32 vcc, s[22:23], v[4:5]
	s_add_u32 s20, s20, 8
	v_add3_u32 v2, v7, v2, v6
	s_addc_u32 s21, s21, 0
	s_cbranch_vccnz .LBB0_9
; %bb.7:                                ;   in Loop: Header=BB0_2 Depth=1
	v_mov_b32_e32 v5, v12
	v_mov_b32_e32 v6, v13
	s_branch .LBB0_2
.LBB0_8:
	v_mov_b32_e32 v9, v2
	v_mov_b32_e32 v13, v6
	;; [unrolled: 1-line block ×4, first 2 shown]
.LBB0_9:
	s_load_dwordx2 s[4:5], s[4:5], 0x28
	s_lshl_b64 s[6:7], s[14:15], 3
	s_add_u32 s2, s18, s6
	s_addc_u32 s3, s19, s7
                                        ; implicit-def: $vgpr10
                                        ; implicit-def: $vgpr14
	s_waitcnt lgkmcnt(0)
	v_cmp_gt_u64_e64 s[0:1], s[4:5], v[12:13]
	v_cmp_le_u64_e32 vcc, s[4:5], v[12:13]
	s_and_saveexec_b64 s[4:5], vcc
	s_xor_b64 s[4:5], exec, s[4:5]
; %bb.10:
	s_mov_b32 s14, 0x10624de
	v_mul_hi_u32 v1, v0, s14
	v_mul_u32_u24_e32 v1, 0xfa, v1
	v_sub_u32_e32 v10, v0, v1
	v_add_u32_e32 v14, 0xfa, v10
                                        ; implicit-def: $vgpr0
                                        ; implicit-def: $vgpr1_vgpr2
; %bb.11:
	s_andn2_saveexec_b64 s[4:5], s[4:5]
	s_cbranch_execz .LBB0_13
; %bb.12:
	s_add_u32 s6, s16, s6
	s_addc_u32 s7, s17, s7
	s_load_dwordx2 s[6:7], s[6:7], 0x0
	s_mov_b32 s14, 0x10624de
	v_mul_hi_u32 v5, v0, s14
	s_waitcnt lgkmcnt(0)
	v_mul_lo_u32 v6, s7, v12
	v_mul_lo_u32 v7, s6, v13
	v_mad_u64_u32 v[3:4], s[6:7], s6, v12, 0
	v_mul_u32_u24_e32 v5, 0xfa, v5
	v_sub_u32_e32 v10, v0, v5
	v_add3_u32 v4, v4, v7, v6
	v_lshlrev_b64 v[3:4], 4, v[3:4]
	v_mov_b32_e32 v0, s9
	v_add_co_u32_e32 v3, vcc, s8, v3
	v_addc_co_u32_e32 v4, vcc, v0, v4, vcc
	v_lshlrev_b64 v[0:1], 4, v[1:2]
	v_lshlrev_b32_e32 v11, 4, v10
	v_add_co_u32_e32 v0, vcc, v3, v0
	v_addc_co_u32_e32 v1, vcc, v4, v1, vcc
	v_add_co_u32_e32 v38, vcc, v0, v11
	v_addc_co_u32_e32 v39, vcc, 0, v1, vcc
	s_movk_i32 s6, 0x1000
	v_add_co_u32_e32 v22, vcc, s6, v38
	v_addc_co_u32_e32 v23, vcc, 0, v39, vcc
	s_movk_i32 s6, 0x2000
	;; [unrolled: 3-line block ×6, first 2 shown]
	v_add_co_u32_e32 v42, vcc, s6, v38
	v_addc_co_u32_e32 v43, vcc, 0, v39, vcc
	v_add_co_u32_e32 v46, vcc, 0x7000, v38
	v_addc_co_u32_e32 v47, vcc, 0, v39, vcc
	global_load_dwordx4 v[0:3], v[38:39], off
	global_load_dwordx4 v[4:7], v[38:39], off offset:4000
	global_load_dwordx4 v[14:17], v[22:23], off offset:3904
	;; [unrolled: 1-line block ×3, first 2 shown]
	s_nop 0
	global_load_dwordx4 v[22:25], v[30:31], off offset:3712
	global_load_dwordx4 v[26:29], v[32:33], off offset:3616
	v_add_co_u32_e32 v48, vcc, 0x8000, v38
	global_load_dwordx4 v[30:33], v[40:41], off offset:3520
	global_load_dwordx4 v[34:37], v[42:43], off offset:3424
	v_addc_co_u32_e32 v49, vcc, 0, v39, vcc
	global_load_dwordx4 v[38:41], v[46:47], off offset:3328
	global_load_dwordx4 v[42:45], v[48:49], off offset:3232
	v_add_u32_e32 v11, 0, v11
	s_waitcnt vmcnt(9)
	ds_write_b128 v11, v[0:3]
	s_waitcnt vmcnt(8)
	ds_write_b128 v11, v[4:7] offset:4000
	s_waitcnt vmcnt(7)
	ds_write_b128 v11, v[14:17] offset:8000
	;; [unrolled: 2-line block ×6, first 2 shown]
	v_add_u32_e32 v14, 0xfa, v10
	s_waitcnt vmcnt(2)
	ds_write_b128 v11, v[34:37] offset:28000
	s_waitcnt vmcnt(1)
	ds_write_b128 v11, v[38:41] offset:32000
	;; [unrolled: 2-line block ×3, first 2 shown]
.LBB0_13:
	s_or_b64 exec, exec, s[4:5]
	v_lshlrev_b32_e32 v11, 4, v10
	v_add_u32_e32 v21, 0, v11
	s_load_dwordx2 s[2:3], s[2:3], 0x0
	s_waitcnt lgkmcnt(0)
	s_barrier
	ds_read_b128 v[17:20], v21
	ds_read_b128 v[22:25], v21 offset:8000
	ds_read_b128 v[26:29], v21 offset:16000
	;; [unrolled: 1-line block ×5, first 2 shown]
	s_waitcnt lgkmcnt(4)
	v_add_f64 v[4:5], v[17:18], v[22:23]
	s_mov_b32 s8, 0x134454ff
	s_waitcnt lgkmcnt(2)
	v_add_f64 v[6:7], v[26:27], v[30:31]
	s_mov_b32 s9, 0x3fee6f0e
	s_waitcnt lgkmcnt(0)
	v_add_f64 v[50:51], v[24:25], -v[36:37]
	v_add_f64 v[54:55], v[28:29], -v[32:33]
	v_add_f64 v[56:57], v[22:23], -v[26:27]
	v_add_f64 v[60:61], v[34:35], -v[30:31]
	v_add_f64 v[4:5], v[4:5], v[26:27]
	v_add_f64 v[62:63], v[22:23], v[34:35]
	v_fma_f64 v[52:53], v[6:7], -0.5, v[17:18]
	s_mov_b32 s6, 0x4755a5e
	s_mov_b32 s7, 0x3fe2cf23
	;; [unrolled: 1-line block ×4, first 2 shown]
	v_add_f64 v[56:57], v[56:57], v[60:61]
	v_add_f64 v[15:16], v[4:5], v[30:31]
	v_fma_f64 v[60:61], v[62:63], -0.5, v[17:18]
	v_fma_f64 v[58:59], v[50:51], s[8:9], v[52:53]
	v_add_f64 v[62:63], v[28:29], v[32:33]
	v_fma_f64 v[52:53], v[50:51], s[16:17], v[52:53]
	v_add_f64 v[66:67], v[22:23], -v[34:35]
	v_add_f64 v[22:23], v[26:27], -v[22:23]
	s_mov_b32 s4, 0x372fe950
	v_add_f64 v[15:16], v[15:16], v[34:35]
	v_add_f64 v[34:35], v[30:31], -v[34:35]
	v_fma_f64 v[58:59], v[54:55], s[6:7], v[58:59]
	s_mov_b32 s5, 0x3fd3c6ef
	s_mov_b32 s15, 0xbfe2cf23
	;; [unrolled: 1-line block ×3, first 2 shown]
	v_add_f64 v[64:65], v[19:20], v[24:25]
	v_fma_f64 v[62:63], v[62:63], -0.5, v[19:20]
	v_fma_f64 v[52:53], v[54:55], s[14:15], v[52:53]
	v_add_f64 v[22:23], v[22:23], v[34:35]
	v_fma_f64 v[17:18], v[56:57], s[4:5], v[58:59]
	v_fma_f64 v[58:59], v[54:55], s[16:17], v[60:61]
	;; [unrolled: 1-line block ×3, first 2 shown]
	v_add_f64 v[34:35], v[24:25], v[36:37]
	ds_read_b128 v[38:41], v21 offset:4000
	ds_read_b128 v[42:45], v21 offset:12000
	;; [unrolled: 1-line block ×4, first 2 shown]
	v_add_f64 v[60:61], v[64:65], v[28:29]
	v_fma_f64 v[64:65], v[66:67], s[16:17], v[62:63]
	v_add_f64 v[26:27], v[26:27], -v[30:31]
	v_fma_f64 v[58:59], v[50:51], s[6:7], v[58:59]
	v_fma_f64 v[50:51], v[50:51], s[14:15], v[54:55]
	;; [unrolled: 1-line block ×3, first 2 shown]
	s_waitcnt lgkmcnt(0)
	v_add_f64 v[56:57], v[46:47], v[4:5]
	v_fma_f64 v[19:20], v[34:35], -0.5, v[19:20]
	v_add_f64 v[30:31], v[24:25], -v[28:29]
	v_add_f64 v[68:69], v[36:37], -v[32:33]
	v_add_f64 v[54:55], v[60:61], v[32:33]
	v_fma_f64 v[60:61], v[26:27], s[14:15], v[64:65]
	v_fma_f64 v[58:59], v[22:23], s[4:5], v[58:59]
	;; [unrolled: 1-line block ×3, first 2 shown]
	v_add_f64 v[22:23], v[38:39], v[42:43]
	v_fma_f64 v[34:35], v[56:57], -0.5, v[38:39]
	v_add_f64 v[56:57], v[44:45], -v[2:3]
	v_fma_f64 v[62:63], v[66:67], s[8:9], v[62:63]
	v_fma_f64 v[64:65], v[26:27], s[8:9], v[19:20]
	v_add_f64 v[24:25], v[28:29], -v[24:25]
	v_add_f64 v[28:29], v[32:33], -v[36:37]
	v_fma_f64 v[19:20], v[26:27], s[16:17], v[19:20]
	v_add_f64 v[30:31], v[30:31], v[68:69]
	v_add_f64 v[54:55], v[54:55], v[36:37]
	;; [unrolled: 1-line block ×3, first 2 shown]
	v_fma_f64 v[32:33], v[56:57], s[8:9], v[34:35]
	v_add_f64 v[36:37], v[48:49], -v[6:7]
	v_add_f64 v[68:69], v[42:43], -v[46:47]
	;; [unrolled: 1-line block ×3, first 2 shown]
	v_fma_f64 v[26:27], v[26:27], s[6:7], v[62:63]
	v_add_f64 v[62:63], v[42:43], v[0:1]
	v_fma_f64 v[64:65], v[66:67], s[14:15], v[64:65]
	v_add_f64 v[24:25], v[24:25], v[28:29]
	v_fma_f64 v[28:29], v[66:67], s[6:7], v[19:20]
	v_fma_f64 v[60:61], v[30:31], s[4:5], v[60:61]
	v_add_f64 v[22:23], v[22:23], v[4:5]
	v_fma_f64 v[32:33], v[36:37], s[6:7], v[32:33]
	v_add_f64 v[66:67], v[68:69], v[70:71]
	v_fma_f64 v[19:20], v[30:31], s[4:5], v[26:27]
	v_fma_f64 v[26:27], v[62:63], -0.5, v[38:39]
	v_fma_f64 v[30:31], v[56:57], s[16:17], v[34:35]
	v_add_f64 v[34:35], v[48:49], v[6:7]
	v_fma_f64 v[62:63], v[24:25], s[4:5], v[64:65]
	v_fma_f64 v[64:65], v[24:25], s[4:5], v[28:29]
	v_add_f64 v[24:25], v[44:45], v[2:3]
	v_add_f64 v[38:39], v[22:23], v[0:1]
	v_fma_f64 v[22:23], v[66:67], s[4:5], v[32:33]
	v_fma_f64 v[28:29], v[36:37], s[16:17], v[26:27]
	;; [unrolled: 1-line block ×3, first 2 shown]
	v_fma_f64 v[32:33], v[34:35], -0.5, v[40:41]
	v_add_f64 v[34:35], v[42:43], -v[0:1]
	v_add_f64 v[42:43], v[46:47], -v[42:43]
	;; [unrolled: 1-line block ×4, first 2 shown]
	v_fma_f64 v[24:25], v[24:25], -0.5, v[40:41]
	v_fma_f64 v[26:27], v[36:37], s[8:9], v[26:27]
	v_add_f64 v[36:37], v[40:41], v[44:45]
	v_add_f64 v[46:47], v[44:45], -v[48:49]
	v_add_f64 v[44:45], v[48:49], -v[44:45]
	;; [unrolled: 1-line block ×3, first 2 shown]
	v_add_f64 v[0:1], v[42:43], v[0:1]
	v_fma_f64 v[28:29], v[56:57], s[6:7], v[28:29]
	v_fma_f64 v[42:43], v[4:5], s[8:9], v[24:25]
	;; [unrolled: 1-line block ×3, first 2 shown]
	v_add_f64 v[68:69], v[2:3], -v[6:7]
	v_fma_f64 v[26:27], v[56:57], s[14:15], v[26:27]
	v_add_f64 v[36:37], v[36:37], v[48:49]
	v_fma_f64 v[32:33], v[34:35], s[8:9], v[32:33]
	v_fma_f64 v[24:25], v[4:5], s[16:17], v[24:25]
	v_add_f64 v[44:45], v[44:45], v[70:71]
	v_fma_f64 v[42:43], v[34:35], s[14:15], v[42:43]
	;; [unrolled: 3-line block ×4, first 2 shown]
	v_fma_f64 v[6:7], v[34:35], s[6:7], v[24:25]
	v_fma_f64 v[32:33], v[44:45], s[4:5], v[42:43]
	;; [unrolled: 1-line block ×3, first 2 shown]
	s_mov_b32 s18, 0x9b97f4a8
	s_mov_b32 s19, 0x3fe9e377
	v_fma_f64 v[24:25], v[46:47], s[4:5], v[40:41]
	v_add_f64 v[36:37], v[0:1], v[2:3]
	v_fma_f64 v[2:3], v[46:47], s[4:5], v[4:5]
	v_fma_f64 v[4:5], v[44:45], s[4:5], v[6:7]
	v_mul_f64 v[34:35], v[22:23], s[18:19]
	v_mul_f64 v[22:23], v[22:23], s[14:15]
	;; [unrolled: 1-line block ×8, first 2 shown]
	v_fma_f64 v[34:35], v[24:25], s[6:7], v[34:35]
	v_fma_f64 v[68:69], v[24:25], s[18:19], v[22:23]
	;; [unrolled: 1-line block ×4, first 2 shown]
	v_fma_f64 v[40:41], v[4:5], s[8:9], -v[40:41]
	v_fma_f64 v[66:67], v[2:3], s[6:7], -v[42:43]
	;; [unrolled: 1-line block ×4, first 2 shown]
	v_add_f64 v[0:1], v[15:16], v[38:39]
	v_add_f64 v[2:3], v[54:55], v[36:37]
	v_add_f64 v[4:5], v[17:18], v[34:35]
	v_add_f64 v[6:7], v[60:61], v[68:69]
	v_add_f64 v[22:23], v[58:59], v[56:57]
	v_add_f64 v[24:25], v[62:63], v[44:45]
	v_add_f64 v[26:27], v[50:51], v[40:41]
	v_add_f64 v[28:29], v[64:65], v[70:71]
	v_add_f64 v[30:31], v[52:53], v[66:67]
	v_add_f64 v[32:33], v[19:20], v[48:49]
	v_add_f64 v[15:16], v[15:16], -v[38:39]
	v_add_f64 v[34:35], v[17:18], -v[34:35]
	v_add_f64 v[17:18], v[54:55], -v[36:37]
	v_add_f64 v[36:37], v[60:61], -v[68:69]
	s_movk_i32 s20, 0x90
	v_add_f64 v[38:39], v[58:59], -v[56:57]
	v_add_f64 v[42:43], v[50:51], -v[40:41]
	;; [unrolled: 1-line block ×4, first 2 shown]
	v_mad_u32_u24 v19, v10, s20, v21
	s_movk_i32 s20, 0xcd
	v_add_f64 v[46:47], v[52:53], -v[66:67]
	v_add_f64 v[44:45], v[64:65], -v[70:71]
	s_barrier
	ds_write_b128 v19, v[0:3]
	ds_write_b128 v19, v[4:7] offset:16
	ds_write_b128 v19, v[22:25] offset:32
	;; [unrolled: 1-line block ×9, first 2 shown]
	v_mul_lo_u16_sdwa v0, v10, s20 dst_sel:DWORD dst_unused:UNUSED_PAD src0_sel:BYTE_0 src1_sel:DWORD
	v_lshrrev_b16_e32 v0, 11, v0
	v_mul_lo_u16_e32 v1, 10, v0
	v_sub_u16_e32 v1, v10, v1
	v_mov_b32_e32 v2, 6
	v_lshlrev_b32_sdwa v2, v2, v1 dst_sel:DWORD dst_unused:UNUSED_PAD src0_sel:DWORD src1_sel:BYTE_0
	s_waitcnt lgkmcnt(0)
	s_barrier
	global_load_dwordx4 v[15:18], v2, s[12:13]
	global_load_dwordx4 v[23:26], v2, s[12:13] offset:16
	global_load_dwordx4 v[27:30], v2, s[12:13] offset:32
	;; [unrolled: 1-line block ×3, first 2 shown]
	s_mov_b32 s20, 0xcccd
	v_mul_u32_u24_sdwa v2, v14, s20 dst_sel:DWORD dst_unused:UNUSED_PAD src0_sel:WORD_0 src1_sel:DWORD
	v_lshrrev_b32_e32 v3, 19, v2
	v_mul_lo_u16_e32 v2, 10, v3
	v_sub_u16_e32 v4, v14, v2
	v_lshlrev_b32_e32 v2, 6, v4
	global_load_dwordx4 v[35:38], v2, s[12:13]
	global_load_dwordx4 v[39:42], v2, s[12:13] offset:16
	global_load_dwordx4 v[43:46], v2, s[12:13] offset:32
	;; [unrolled: 1-line block ×3, first 2 shown]
	ds_read_b128 v[51:54], v21 offset:8000
	ds_read_b128 v[55:58], v21 offset:12000
	v_lshl_add_u32 v22, v14, 4, 0
	v_mov_b32_e32 v2, 4
	v_mul_u32_u24_e32 v0, 0x320, v0
	v_lshlrev_b32_sdwa v1, v2, v1 dst_sel:DWORD dst_unused:UNUSED_PAD src0_sel:DWORD src1_sel:BYTE_0
	v_add3_u32 v0, 0, v0, v1
	v_lshlrev_b32_e32 v1, 4, v4
	s_waitcnt vmcnt(7) lgkmcnt(1)
	v_mul_f64 v[5:6], v[53:54], v[17:18]
	v_mul_f64 v[71:72], v[51:52], v[17:18]
	ds_read_b128 v[17:20], v21 offset:16000
	ds_read_b128 v[59:62], v21 offset:20000
	;; [unrolled: 1-line block ×4, first 2 shown]
	s_waitcnt vmcnt(6) lgkmcnt(3)
	v_mul_f64 v[75:76], v[19:20], v[25:26]
	v_fma_f64 v[5:6], v[51:52], v[15:16], -v[5:6]
	v_fma_f64 v[77:78], v[53:54], v[15:16], v[71:72]
	s_waitcnt vmcnt(5) lgkmcnt(1)
	v_mul_f64 v[15:16], v[65:66], v[29:30]
	v_mul_f64 v[29:30], v[63:64], v[29:30]
	ds_read_b128 v[51:54], v21 offset:32000
	ds_read_b128 v[71:74], v22
	v_mul_f64 v[25:26], v[17:18], v[25:26]
	v_fma_f64 v[75:76], v[17:18], v[23:24], -v[75:76]
	s_waitcnt vmcnt(3)
	v_mul_f64 v[81:82], v[57:58], v[37:38]
	s_waitcnt lgkmcnt(1)
	v_mul_f64 v[79:80], v[53:54], v[33:34]
	v_mul_f64 v[33:34], v[51:52], v[33:34]
	v_fma_f64 v[63:64], v[63:64], v[27:28], -v[15:16]
	v_fma_f64 v[29:30], v[65:66], v[27:28], v[29:30]
	v_mul_f64 v[27:28], v[55:56], v[37:38]
	v_fma_f64 v[19:20], v[19:20], v[23:24], v[25:26]
	ds_read_b128 v[15:18], v21
	ds_read_b128 v[23:26], v21 offset:36000
	s_waitcnt lgkmcnt(0)
	v_fma_f64 v[37:38], v[51:52], v[31:32], -v[79:80]
	v_fma_f64 v[31:32], v[53:54], v[31:32], v[33:34]
	v_fma_f64 v[51:52], v[55:56], v[35:36], -v[81:82]
	s_waitcnt vmcnt(2)
	v_mul_f64 v[33:34], v[61:62], v[41:42]
	v_add_f64 v[53:54], v[15:16], v[5:6]
	v_add_f64 v[55:56], v[75:76], v[63:64]
	v_fma_f64 v[57:58], v[57:58], v[35:36], v[27:28]
	v_mul_f64 v[27:28], v[59:60], v[41:42]
	s_waitcnt vmcnt(1)
	v_mul_f64 v[35:36], v[69:70], v[45:46]
	v_mul_f64 v[41:42], v[67:68], v[45:46]
	s_waitcnt vmcnt(0)
	v_mul_f64 v[45:46], v[25:26], v[49:50]
	v_fma_f64 v[59:60], v[59:60], v[39:40], -v[33:34]
	v_add_f64 v[33:34], v[53:54], v[75:76]
	v_fma_f64 v[53:54], v[55:56], -0.5, v[15:16]
	v_add_f64 v[55:56], v[77:78], -v[31:32]
	v_fma_f64 v[61:62], v[61:62], v[39:40], v[27:28]
	v_add_f64 v[27:28], v[5:6], v[37:38]
	v_fma_f64 v[65:66], v[67:68], v[43:44], -v[35:36]
	v_fma_f64 v[45:46], v[23:24], v[47:48], -v[45:46]
	v_mul_f64 v[23:24], v[23:24], v[49:50]
	v_fma_f64 v[41:42], v[69:70], v[43:44], v[41:42]
	v_add_f64 v[33:34], v[33:34], v[63:64]
	v_fma_f64 v[35:36], v[55:56], s[8:9], v[53:54]
	v_add_f64 v[39:40], v[19:20], -v[29:30]
	v_add_f64 v[43:44], v[5:6], -v[75:76]
	;; [unrolled: 1-line block ×3, first 2 shown]
	v_fma_f64 v[53:54], v[55:56], s[16:17], v[53:54]
	v_fma_f64 v[27:28], v[27:28], -0.5, v[15:16]
	v_fma_f64 v[67:68], v[25:26], v[47:48], v[23:24]
	v_add_f64 v[23:24], v[17:18], v[77:78]
	v_add_f64 v[25:26], v[19:20], v[29:30]
	;; [unrolled: 1-line block ×3, first 2 shown]
	v_fma_f64 v[33:34], v[39:40], s[6:7], v[35:36]
	v_add_f64 v[35:36], v[43:44], v[49:50]
	v_fma_f64 v[43:44], v[39:40], s[14:15], v[53:54]
	v_fma_f64 v[47:48], v[39:40], s[16:17], v[27:28]
	v_add_f64 v[49:50], v[75:76], -v[5:6]
	v_add_f64 v[53:54], v[63:64], -v[37:38]
	v_add_f64 v[69:70], v[23:24], v[19:20]
	v_fma_f64 v[25:26], v[25:26], -0.5, v[17:18]
	v_add_f64 v[5:6], v[5:6], -v[37:38]
	v_fma_f64 v[23:24], v[35:36], s[4:5], v[33:34]
	v_fma_f64 v[33:34], v[39:40], s[8:9], v[27:28]
	;; [unrolled: 1-line block ×3, first 2 shown]
	v_add_f64 v[43:44], v[77:78], v[31:32]
	v_fma_f64 v[35:36], v[55:56], s[6:7], v[47:48]
	v_add_f64 v[37:38], v[49:50], v[53:54]
	v_add_f64 v[39:40], v[69:70], v[29:30]
	v_fma_f64 v[47:48], v[5:6], s[16:17], v[25:26]
	v_add_f64 v[49:50], v[75:76], -v[63:64]
	v_add_f64 v[53:54], v[59:60], v[65:66]
	v_fma_f64 v[33:34], v[55:56], s[14:15], v[33:34]
	v_add_f64 v[55:56], v[77:78], -v[19:20]
	v_add_f64 v[63:64], v[31:32], -v[29:30]
	v_fma_f64 v[25:26], v[5:6], s[8:9], v[25:26]
	v_fma_f64 v[43:44], v[43:44], -0.5, v[17:18]
	v_add_f64 v[17:18], v[39:40], v[31:32]
	v_fma_f64 v[39:40], v[49:50], s[14:15], v[47:48]
	v_add_f64 v[47:48], v[71:72], v[51:52]
	v_fma_f64 v[53:54], v[53:54], -0.5, v[71:72]
	v_add_f64 v[69:70], v[57:58], -v[67:68]
	v_add_f64 v[19:20], v[19:20], -v[77:78]
	;; [unrolled: 1-line block ×3, first 2 shown]
	v_add_f64 v[55:56], v[55:56], v[63:64]
	v_fma_f64 v[63:64], v[49:50], s[6:7], v[25:26]
	v_fma_f64 v[25:26], v[49:50], s[8:9], v[43:44]
	;; [unrolled: 1-line block ×3, first 2 shown]
	v_add_f64 v[43:44], v[47:48], v[59:60]
	v_fma_f64 v[47:48], v[69:70], s[8:9], v[53:54]
	v_add_f64 v[49:50], v[61:62], -v[41:42]
	v_add_f64 v[75:76], v[51:52], -v[59:60]
	;; [unrolled: 1-line block ×3, first 2 shown]
	v_add_f64 v[19:20], v[19:20], v[29:30]
	v_add_f64 v[29:30], v[51:52], v[45:46]
	v_fma_f64 v[79:80], v[5:6], s[14:15], v[25:26]
	v_fma_f64 v[5:6], v[5:6], s[6:7], v[31:32]
	v_add_f64 v[43:44], v[43:44], v[65:66]
	v_fma_f64 v[47:48], v[49:50], s[6:7], v[47:48]
	v_fma_f64 v[31:32], v[37:38], s[4:5], v[35:36]
	v_add_f64 v[75:76], v[75:76], v[77:78]
	v_fma_f64 v[35:36], v[37:38], s[4:5], v[33:34]
	v_fma_f64 v[71:72], v[29:30], -0.5, v[71:72]
	v_fma_f64 v[25:26], v[55:56], s[4:5], v[39:40]
	v_fma_f64 v[37:38], v[19:20], s[4:5], v[5:6]
	v_add_f64 v[5:6], v[61:62], v[41:42]
	v_fma_f64 v[29:30], v[55:56], s[4:5], v[63:64]
	v_add_f64 v[39:40], v[43:44], v[45:46]
	;; [unrolled: 2-line block ×3, first 2 shown]
	v_fma_f64 v[47:48], v[49:50], s[16:17], v[71:72]
	v_fma_f64 v[33:34], v[19:20], s[4:5], v[79:80]
	;; [unrolled: 1-line block ×3, first 2 shown]
	v_add_f64 v[53:54], v[59:60], -v[51:52]
	v_add_f64 v[63:64], v[65:66], -v[45:46]
	;; [unrolled: 1-line block ×3, first 2 shown]
	v_add_f64 v[51:52], v[73:74], v[57:58]
	v_fma_f64 v[5:6], v[5:6], -0.5, v[73:74]
	v_fma_f64 v[77:78], v[69:70], s[6:7], v[47:48]
	v_add_f64 v[47:48], v[59:60], -v[65:66]
	v_fma_f64 v[55:56], v[55:56], -0.5, v[73:74]
	v_add_f64 v[65:66], v[67:68], -v[41:42]
	v_add_f64 v[53:54], v[53:54], v[63:64]
	v_add_f64 v[63:64], v[57:58], -v[61:62]
	v_add_f64 v[51:52], v[51:52], v[61:62]
	v_fma_f64 v[59:60], v[45:46], s[16:17], v[5:6]
	v_fma_f64 v[19:20], v[49:50], s[14:15], v[19:20]
	;; [unrolled: 1-line block ×4, first 2 shown]
	v_add_f64 v[57:58], v[61:62], -v[57:58]
	v_add_f64 v[61:62], v[41:42], -v[67:68]
	v_fma_f64 v[55:56], v[47:48], s[16:17], v[55:56]
	v_fma_f64 v[5:6], v[45:46], s[8:9], v[5:6]
	v_add_f64 v[41:42], v[51:52], v[41:42]
	v_fma_f64 v[59:60], v[47:48], s[14:15], v[59:60]
	v_add_f64 v[63:64], v[63:64], v[65:66]
	v_fma_f64 v[49:50], v[69:70], s[14:15], v[49:50]
	v_fma_f64 v[65:66], v[45:46], s[14:15], v[71:72]
	v_add_f64 v[57:58], v[57:58], v[61:62]
	v_fma_f64 v[61:62], v[45:46], s[6:7], v[55:56]
	;; [unrolled: 3-line block ×3, first 2 shown]
	v_fma_f64 v[45:46], v[63:64], s[4:5], v[59:60]
	v_fma_f64 v[55:56], v[53:54], s[4:5], v[49:50]
	;; [unrolled: 1-line block ×6, first 2 shown]
	s_barrier
	ds_write_b128 v0, v[15:18]
	ds_write_b128 v0, v[23:26] offset:160
	ds_write_b128 v0, v[31:34] offset:320
	;; [unrolled: 1-line block ×4, first 2 shown]
	v_mul_u32_u24_e32 v0, 0x320, v3
	v_add3_u32 v0, 0, v0, v1
	ds_write_b128 v0, v[39:42]
	ds_write_b128 v0, v[43:46] offset:160
	ds_write_b128 v0, v[51:54] offset:320
	;; [unrolled: 1-line block ×4, first 2 shown]
	v_mov_b32_e32 v0, 41
	v_mul_lo_u16_sdwa v0, v10, v0 dst_sel:DWORD dst_unused:UNUSED_PAD src0_sel:BYTE_0 src1_sel:DWORD
	v_lshrrev_b16_e32 v4, 11, v0
	v_mul_lo_u16_e32 v0, 50, v4
	v_sub_u16_e32 v3, v10, v0
	v_mov_b32_e32 v0, 9
	v_mul_u32_u24_sdwa v0, v3, v0 dst_sel:DWORD dst_unused:UNUSED_PAD src0_sel:BYTE_0 src1_sel:DWORD
	v_lshlrev_b32_e32 v0, 4, v0
	s_waitcnt lgkmcnt(0)
	s_barrier
	global_load_dwordx4 v[15:18], v0, s[12:13] offset:640
	global_load_dwordx4 v[23:26], v0, s[12:13] offset:656
	;; [unrolled: 1-line block ×9, first 2 shown]
	ds_read_b128 v[55:58], v22
	ds_read_b128 v[59:62], v21 offset:8000
	ds_read_b128 v[63:66], v21 offset:12000
	;; [unrolled: 1-line block ×3, first 2 shown]
	s_waitcnt vmcnt(8) lgkmcnt(3)
	v_mul_f64 v[0:1], v[57:58], v[17:18]
	v_mul_f64 v[5:6], v[55:56], v[17:18]
	s_waitcnt vmcnt(7) lgkmcnt(2)
	v_mul_f64 v[75:76], v[61:62], v[25:26]
	v_mul_f64 v[25:26], v[59:60], v[25:26]
	ds_read_b128 v[17:20], v21 offset:16000
	ds_read_b128 v[71:74], v21 offset:20000
	v_fma_f64 v[77:78], v[55:56], v[15:16], -v[0:1]
	v_fma_f64 v[5:6], v[57:58], v[15:16], v[5:6]
	ds_read_b128 v[55:58], v21 offset:24000
	v_fma_f64 v[0:1], v[59:60], v[23:24], -v[75:76]
	s_waitcnt vmcnt(5) lgkmcnt(2)
	v_mul_f64 v[59:60], v[19:20], v[33:34]
	v_fma_f64 v[61:62], v[61:62], v[23:24], v[25:26]
	ds_read_b128 v[23:26], v21 offset:28000
	v_mul_f64 v[33:34], v[17:18], v[33:34]
	s_waitcnt vmcnt(4) lgkmcnt(1)
	v_mul_f64 v[75:76], v[57:58], v[37:38]
	v_mul_f64 v[15:16], v[65:66], v[29:30]
	;; [unrolled: 1-line block ×3, first 2 shown]
	s_waitcnt vmcnt(3)
	v_mul_f64 v[79:80], v[73:74], v[41:42]
	v_fma_f64 v[59:60], v[17:18], v[31:32], -v[59:60]
	v_mul_f64 v[41:42], v[71:72], v[41:42]
	v_mul_f64 v[37:38], v[55:56], v[37:38]
	v_fma_f64 v[19:20], v[19:20], v[31:32], v[33:34]
	v_fma_f64 v[31:32], v[55:56], v[35:36], -v[75:76]
	s_waitcnt vmcnt(2)
	v_mul_f64 v[33:34], v[67:68], v[45:46]
	v_mul_f64 v[45:46], v[69:70], v[45:46]
	v_fma_f64 v[63:64], v[63:64], v[27:28], -v[15:16]
	v_fma_f64 v[65:66], v[65:66], v[27:28], v[29:30]
	ds_read_b128 v[15:18], v21
	ds_read_b128 v[27:30], v21 offset:36000
	v_fma_f64 v[71:72], v[71:72], v[39:40], -v[79:80]
	v_fma_f64 v[39:40], v[73:74], v[39:40], v[41:42]
	v_add_f64 v[55:56], v[59:60], v[31:32]
	v_fma_f64 v[33:34], v[69:70], v[43:44], v[33:34]
	v_fma_f64 v[43:44], v[67:68], v[43:44], -v[45:46]
	s_waitcnt vmcnt(1) lgkmcnt(2)
	v_mul_f64 v[45:46], v[23:24], v[49:50]
	s_waitcnt lgkmcnt(1)
	v_add_f64 v[41:42], v[15:16], v[0:1]
	v_mul_f64 v[69:70], v[25:26], v[49:50]
	v_fma_f64 v[35:36], v[57:58], v[35:36], v[37:38]
	s_waitcnt vmcnt(0) lgkmcnt(0)
	v_mul_f64 v[37:38], v[29:30], v[53:54]
	v_fma_f64 v[49:50], v[55:56], -0.5, v[15:16]
	v_add_f64 v[55:56], v[61:62], -v[33:34]
	v_add_f64 v[67:68], v[0:1], -v[59:60]
	v_fma_f64 v[25:26], v[25:26], v[47:48], v[45:46]
	v_add_f64 v[45:46], v[0:1], v[43:44]
	v_add_f64 v[41:42], v[41:42], v[59:60]
	v_fma_f64 v[23:24], v[23:24], v[47:48], -v[69:70]
	v_mul_f64 v[47:48], v[27:28], v[53:54]
	v_add_f64 v[57:58], v[19:20], -v[35:36]
	v_fma_f64 v[53:54], v[55:56], s[8:9], v[49:50]
	v_add_f64 v[69:70], v[43:44], -v[31:32]
	v_fma_f64 v[27:28], v[27:28], v[51:52], -v[37:38]
	v_fma_f64 v[15:16], v[45:46], -0.5, v[15:16]
	v_add_f64 v[41:42], v[41:42], v[31:32]
	v_fma_f64 v[49:50], v[55:56], s[16:17], v[49:50]
	v_fma_f64 v[29:30], v[29:30], v[51:52], v[47:48]
	v_add_f64 v[45:46], v[19:20], v[35:36]
	v_fma_f64 v[37:38], v[57:58], s[6:7], v[53:54]
	v_add_f64 v[47:48], v[67:68], v[69:70]
	v_add_f64 v[53:54], v[59:60], -v[0:1]
	v_fma_f64 v[51:52], v[57:58], s[16:17], v[15:16]
	v_add_f64 v[67:68], v[31:32], -v[43:44]
	v_add_f64 v[41:42], v[41:42], v[43:44]
	v_fma_f64 v[15:16], v[57:58], s[8:9], v[15:16]
	v_add_f64 v[69:70], v[17:18], v[61:62]
	v_add_f64 v[0:1], v[0:1], -v[43:44]
	v_fma_f64 v[43:44], v[47:48], s[4:5], v[37:38]
	v_fma_f64 v[37:38], v[57:58], s[14:15], v[49:50]
	;; [unrolled: 1-line block ×3, first 2 shown]
	v_add_f64 v[51:52], v[53:54], v[67:68]
	v_add_f64 v[53:54], v[61:62], v[33:34]
	v_fma_f64 v[45:46], v[45:46], -0.5, v[17:18]
	v_fma_f64 v[15:16], v[55:56], s[14:15], v[15:16]
	v_add_f64 v[55:56], v[69:70], v[19:20]
	v_add_f64 v[31:32], v[59:60], -v[31:32]
	v_add_f64 v[59:60], v[61:62], -v[19:20]
	;; [unrolled: 1-line block ×3, first 2 shown]
	v_fma_f64 v[69:70], v[47:48], s[4:5], v[37:38]
	v_fma_f64 v[17:18], v[53:54], -0.5, v[17:18]
	v_fma_f64 v[57:58], v[0:1], s[16:17], v[45:46]
	v_fma_f64 v[47:48], v[51:52], s[4:5], v[49:50]
	;; [unrolled: 1-line block ×3, first 2 shown]
	v_add_f64 v[15:16], v[55:56], v[35:36]
	v_fma_f64 v[45:46], v[0:1], s[8:9], v[45:46]
	v_add_f64 v[19:20], v[19:20], -v[61:62]
	v_add_f64 v[35:36], v[35:36], -v[33:34]
	v_fma_f64 v[55:56], v[31:32], s[8:9], v[17:18]
	v_fma_f64 v[51:52], v[31:32], s[14:15], v[57:58]
	v_add_f64 v[57:58], v[77:78], v[63:64]
	v_add_f64 v[37:38], v[71:72], v[23:24]
	;; [unrolled: 1-line block ×4, first 2 shown]
	v_fma_f64 v[15:16], v[31:32], s[6:7], v[45:46]
	v_fma_f64 v[17:18], v[31:32], s[16:17], v[17:18]
	;; [unrolled: 1-line block ×3, first 2 shown]
	v_add_f64 v[19:20], v[19:20], v[35:36]
	v_add_f64 v[31:32], v[57:58], v[71:72]
	v_fma_f64 v[37:38], v[37:38], -0.5, v[77:78]
	v_add_f64 v[59:60], v[65:66], -v[29:30]
	v_fma_f64 v[67:68], v[53:54], s[4:5], v[51:52]
	v_add_f64 v[51:52], v[63:64], -v[71:72]
	v_fma_f64 v[17:18], v[0:1], s[6:7], v[17:18]
	v_fma_f64 v[0:1], v[53:54], s[4:5], v[15:16]
	v_fma_f64 v[53:54], v[19:20], s[4:5], v[33:34]
	v_add_f64 v[33:34], v[39:40], v[25:26]
	v_add_f64 v[55:56], v[27:28], -v[23:24]
	v_add_f64 v[31:32], v[31:32], v[23:24]
	v_fma_f64 v[35:36], v[59:60], s[8:9], v[37:38]
	v_add_f64 v[15:16], v[63:64], v[27:28]
	v_fma_f64 v[19:20], v[19:20], s[4:5], v[17:18]
	v_fma_f64 v[17:18], v[59:60], s[16:17], v[37:38]
	v_add_f64 v[37:38], v[63:64], -v[27:28]
	v_fma_f64 v[33:34], v[33:34], -0.5, v[5:6]
	v_add_f64 v[51:52], v[51:52], v[55:56]
	v_add_f64 v[55:56], v[31:32], v[27:28]
	;; [unrolled: 1-line block ×3, first 2 shown]
	v_add_f64 v[45:46], v[39:40], -v[25:26]
	v_fma_f64 v[15:16], v[15:16], -0.5, v[77:78]
	v_add_f64 v[57:58], v[71:72], -v[63:64]
	v_add_f64 v[27:28], v[23:24], -v[27:28]
	;; [unrolled: 1-line block ×3, first 2 shown]
	v_fma_f64 v[71:72], v[37:38], s[16:17], v[33:34]
	v_add_f64 v[73:74], v[65:66], -v[39:40]
	v_add_f64 v[75:76], v[29:30], -v[25:26]
	v_fma_f64 v[31:32], v[31:32], -0.5, v[5:6]
	v_add_f64 v[5:6], v[5:6], v[65:66]
	v_fma_f64 v[35:36], v[45:46], s[6:7], v[35:36]
	v_fma_f64 v[17:18], v[45:46], s[14:15], v[17:18]
	;; [unrolled: 1-line block ×5, first 2 shown]
	v_add_f64 v[71:72], v[73:74], v[75:76]
	v_add_f64 v[27:28], v[57:58], v[27:28]
	v_fma_f64 v[57:58], v[23:24], s[8:9], v[31:32]
	v_add_f64 v[65:66], v[39:40], -v[65:66]
	v_add_f64 v[77:78], v[25:26], -v[29:30]
	v_add_f64 v[5:6], v[5:6], v[39:40]
	v_fma_f64 v[31:32], v[23:24], s[16:17], v[31:32]
	v_fma_f64 v[33:34], v[37:38], s[8:9], v[33:34]
	;; [unrolled: 1-line block ×6, first 2 shown]
	v_add_f64 v[57:58], v[65:66], v[77:78]
	v_add_f64 v[5:6], v[5:6], v[25:26]
	v_fma_f64 v[25:26], v[37:38], s[6:7], v[31:32]
	v_fma_f64 v[23:24], v[23:24], s[6:7], v[33:34]
	;; [unrolled: 1-line block ×3, first 2 shown]
	v_mul_f64 v[37:38], v[45:46], s[6:7]
	v_fma_f64 v[33:34], v[27:28], s[4:5], v[15:16]
	v_fma_f64 v[27:28], v[27:28], s[4:5], v[59:60]
	;; [unrolled: 1-line block ×6, first 2 shown]
	v_add_f64 v[5:6], v[5:6], v[29:30]
	v_fma_f64 v[57:58], v[35:36], s[18:19], v[37:38]
	v_mul_f64 v[35:36], v[35:36], s[14:15]
	v_mul_f64 v[37:38], v[27:28], s[16:17]
	;; [unrolled: 1-line block ×7, first 2 shown]
	v_add_f64 v[15:16], v[41:42], v[55:56]
	v_fma_f64 v[45:46], v[45:46], s[18:19], v[35:36]
	v_fma_f64 v[75:76], v[31:32], s[4:5], v[37:38]
	v_fma_f64 v[65:66], v[27:28], s[4:5], v[29:30]
	v_fma_f64 v[71:72], v[25:26], s[8:9], -v[39:40]
	v_fma_f64 v[59:60], v[33:34], s[16:17], -v[59:60]
	;; [unrolled: 1-line block ×4, first 2 shown]
	v_add_f64 v[17:18], v[61:62], v[5:6]
	v_add_f64 v[23:24], v[43:44], v[57:58]
	v_add_f64 v[25:26], v[67:68], v[45:46]
	v_add_f64 v[27:28], v[47:48], v[65:66]
	v_add_f64 v[29:30], v[53:54], v[75:76]
	v_add_f64 v[31:32], v[49:50], v[71:72]
	v_add_f64 v[33:34], v[19:20], v[59:60]
	v_add_f64 v[35:36], v[69:70], v[73:74]
	v_add_f64 v[37:38], v[0:1], v[63:64]
	v_add_f64 v[39:40], v[41:42], -v[55:56]
	v_add_f64 v[41:42], v[61:62], -v[5:6]
	;; [unrolled: 1-line block ×5, first 2 shown]
	v_mul_u32_u24_e32 v0, 0x1f40, v4
	v_lshlrev_b32_sdwa v1, v2, v3 dst_sel:DWORD dst_unused:UNUSED_PAD src0_sel:DWORD src1_sel:BYTE_0
	v_add_f64 v[47:48], v[47:48], -v[65:66]
	v_add_f64 v[51:52], v[49:50], -v[71:72]
	v_add_f64 v[49:50], v[53:54], -v[75:76]
	v_add3_u32 v0, 0, v0, v1
	v_add_f64 v[55:56], v[69:70], -v[73:74]
	v_add_f64 v[53:54], v[19:20], -v[59:60]
	s_barrier
	ds_write_b128 v0, v[15:18]
	ds_write_b128 v0, v[23:26] offset:800
	ds_write_b128 v0, v[27:30] offset:1600
	;; [unrolled: 1-line block ×9, first 2 shown]
	v_lshlrev_b32_e32 v15, 2, v10
	v_mov_b32_e32 v16, 0
	v_lshlrev_b64 v[0:1], 4, v[15:16]
	v_mov_b32_e32 v2, s13
	v_add_co_u32_e32 v3, vcc, s12, v0
	v_addc_co_u32_e32 v15, vcc, v2, v1, vcc
	s_movk_i32 s19, 0x1000
	v_add_co_u32_e32 v0, vcc, s19, v3
	v_addc_co_u32_e32 v1, vcc, 0, v15, vcc
	s_waitcnt lgkmcnt(0)
	s_barrier
	global_load_dwordx4 v[4:7], v[0:1], off offset:3744
	s_movk_i32 s18, 0x1ea0
	v_add_co_u32_e32 v0, vcc, s18, v3
	v_addc_co_u32_e32 v1, vcc, 0, v15, vcc
	global_load_dwordx4 v[17:20], v[0:1], off offset:16
	global_load_dwordx4 v[23:26], v[0:1], off offset:32
	;; [unrolled: 1-line block ×3, first 2 shown]
	v_lshlrev_b32_e32 v15, 2, v14
	v_lshlrev_b64 v[0:1], 4, v[15:16]
	v_add_co_u32_e32 v3, vcc, s12, v0
	v_addc_co_u32_e32 v2, vcc, v2, v1, vcc
	v_add_co_u32_e32 v0, vcc, s19, v3
	v_addc_co_u32_e32 v1, vcc, 0, v2, vcc
	global_load_dwordx4 v[31:34], v[0:1], off offset:3744
	v_add_co_u32_e32 v0, vcc, s18, v3
	v_addc_co_u32_e32 v1, vcc, 0, v2, vcc
	global_load_dwordx4 v[35:38], v[0:1], off offset:16
	global_load_dwordx4 v[39:42], v[0:1], off offset:32
	;; [unrolled: 1-line block ×3, first 2 shown]
	ds_read_b128 v[47:50], v21 offset:8000
	ds_read_b128 v[51:54], v21 offset:12000
	ds_read_b128 v[55:58], v21 offset:16000
	ds_read_b128 v[59:62], v21 offset:20000
	ds_read_b128 v[63:66], v21 offset:32000
	ds_read_b128 v[0:3], v22
	v_cmp_ne_u32_e32 vcc, 0, v10
	s_waitcnt vmcnt(7) lgkmcnt(5)
	v_mul_f64 v[67:68], v[49:50], v[6:7]
	v_mul_f64 v[6:7], v[47:48], v[6:7]
	s_waitcnt vmcnt(6) lgkmcnt(3)
	v_mul_f64 v[71:72], v[57:58], v[19:20]
	v_mul_f64 v[19:20], v[55:56], v[19:20]
	v_fma_f64 v[73:74], v[47:48], v[4:5], -v[67:68]
	ds_read_b128 v[67:70], v21 offset:24000
	v_fma_f64 v[75:76], v[49:50], v[4:5], v[6:7]
	ds_read_b128 v[47:50], v21 offset:28000
	v_fma_f64 v[55:56], v[55:56], v[17:18], -v[71:72]
	v_fma_f64 v[57:58], v[57:58], v[17:18], v[19:20]
	s_waitcnt vmcnt(5) lgkmcnt(1)
	v_mul_f64 v[4:5], v[69:70], v[25:26]
	v_mul_f64 v[6:7], v[67:68], v[25:26]
	s_waitcnt vmcnt(4)
	v_mul_f64 v[17:18], v[65:66], v[29:30]
	v_mul_f64 v[19:20], v[63:64], v[29:30]
	v_fma_f64 v[29:30], v[67:68], v[23:24], -v[4:5]
	v_fma_f64 v[67:68], v[69:70], v[23:24], v[6:7]
	v_fma_f64 v[63:64], v[63:64], v[27:28], -v[17:18]
	v_fma_f64 v[65:66], v[65:66], v[27:28], v[19:20]
	s_waitcnt vmcnt(3)
	v_mul_f64 v[4:5], v[53:54], v[33:34]
	v_mul_f64 v[6:7], v[51:52], v[33:34]
	s_waitcnt vmcnt(2)
	v_mul_f64 v[27:28], v[61:62], v[37:38]
	v_mul_f64 v[33:34], v[59:60], v[37:38]
	s_waitcnt vmcnt(1) lgkmcnt(0)
	v_mul_f64 v[37:38], v[49:50], v[41:42]
	v_mul_f64 v[41:42], v[47:48], v[41:42]
	ds_read_b128 v[17:20], v21
	ds_read_b128 v[23:26], v21 offset:36000
	v_add_f64 v[77:78], v[57:58], v[67:68]
	v_fma_f64 v[51:52], v[51:52], v[31:32], -v[4:5]
	v_fma_f64 v[4:5], v[53:54], v[31:32], v[6:7]
	v_add_f64 v[31:32], v[55:56], v[29:30]
	v_fma_f64 v[53:54], v[59:60], v[35:36], -v[27:28]
	v_add_f64 v[27:28], v[73:74], v[63:64]
	v_fma_f64 v[59:60], v[61:62], v[35:36], v[33:34]
	v_fma_f64 v[47:48], v[47:48], v[39:40], -v[37:38]
	v_fma_f64 v[6:7], v[49:50], v[39:40], v[41:42]
	s_waitcnt vmcnt(0) lgkmcnt(0)
	v_mul_f64 v[33:34], v[25:26], v[45:46]
	v_add_f64 v[35:36], v[17:18], v[73:74]
	v_fma_f64 v[31:32], v[31:32], -0.5, v[17:18]
	v_add_f64 v[37:38], v[75:76], -v[65:66]
	v_add_f64 v[39:40], v[73:74], -v[55:56]
	;; [unrolled: 1-line block ×4, first 2 shown]
	v_fma_f64 v[17:18], v[27:28], -0.5, v[17:18]
	v_fma_f64 v[61:62], v[23:24], v[43:44], -v[33:34]
	v_add_f64 v[27:28], v[55:56], -v[73:74]
	v_add_f64 v[33:34], v[29:30], -v[63:64]
	v_add_f64 v[35:36], v[35:36], v[55:56]
	v_fma_f64 v[69:70], v[37:38], s[8:9], v[31:32]
	v_add_f64 v[39:40], v[39:40], v[41:42]
	v_fma_f64 v[31:32], v[37:38], s[16:17], v[31:32]
	v_fma_f64 v[41:42], v[49:50], s[16:17], v[17:18]
	v_add_f64 v[71:72], v[19:20], v[75:76]
	v_mul_f64 v[23:24], v[23:24], v[45:46]
	v_add_f64 v[33:34], v[27:28], v[33:34]
	v_add_f64 v[27:28], v[35:36], v[29:30]
	v_fma_f64 v[35:36], v[49:50], s[6:7], v[69:70]
	v_fma_f64 v[69:70], v[77:78], -0.5, v[19:20]
	v_fma_f64 v[31:32], v[49:50], s[14:15], v[31:32]
	v_fma_f64 v[41:42], v[37:38], s[6:7], v[41:42]
	v_add_f64 v[45:46], v[71:72], v[57:58]
	v_add_f64 v[71:72], v[73:74], -v[63:64]
	v_fma_f64 v[73:74], v[25:26], v[43:44], v[23:24]
	v_add_f64 v[23:24], v[27:28], v[63:64]
	v_fma_f64 v[25:26], v[49:50], s[8:9], v[17:18]
	v_fma_f64 v[17:18], v[39:40], s[4:5], v[35:36]
	;; [unrolled: 1-line block ×4, first 2 shown]
	v_add_f64 v[35:36], v[45:46], v[67:68]
	v_add_f64 v[41:42], v[75:76], v[65:66]
	;; [unrolled: 1-line block ×3, first 2 shown]
	v_fma_f64 v[39:40], v[71:72], s[16:17], v[69:70]
	v_add_f64 v[29:30], v[55:56], -v[29:30]
	v_fma_f64 v[37:38], v[37:38], s[14:15], v[25:26]
	v_add_f64 v[45:46], v[75:76], -v[57:58]
	v_add_f64 v[49:50], v[65:66], -v[67:68]
	v_fma_f64 v[55:56], v[71:72], s[8:9], v[69:70]
	v_add_f64 v[25:26], v[35:36], v[65:66]
	v_fma_f64 v[19:20], v[41:42], -0.5, v[19:20]
	v_add_f64 v[35:36], v[0:1], v[51:52]
	v_fma_f64 v[41:42], v[43:44], -0.5, v[0:1]
	v_add_f64 v[43:44], v[4:5], -v[73:74]
	v_fma_f64 v[39:40], v[29:30], s[14:15], v[39:40]
	v_add_f64 v[45:46], v[45:46], v[49:50]
	v_fma_f64 v[49:50], v[29:30], s[6:7], v[55:56]
	v_add_f64 v[55:56], v[57:58], -v[75:76]
	v_add_f64 v[57:58], v[67:68], -v[65:66]
	v_fma_f64 v[63:64], v[29:30], s[8:9], v[19:20]
	v_fma_f64 v[19:20], v[29:30], s[16:17], v[19:20]
	v_add_f64 v[29:30], v[35:36], v[53:54]
	v_fma_f64 v[65:66], v[43:44], s[8:9], v[41:42]
	v_add_f64 v[67:68], v[59:60], -v[6:7]
	v_add_f64 v[69:70], v[51:52], -v[53:54]
	;; [unrolled: 1-line block ×3, first 2 shown]
	v_add_f64 v[55:56], v[55:56], v[57:58]
	v_add_f64 v[57:58], v[51:52], v[61:62]
	v_fma_f64 v[35:36], v[33:34], s[4:5], v[37:38]
	v_fma_f64 v[33:34], v[71:72], s[14:15], v[63:64]
	v_add_f64 v[63:64], v[29:30], v[47:48]
	v_fma_f64 v[37:38], v[71:72], s[6:7], v[19:20]
	v_fma_f64 v[65:66], v[67:68], s[6:7], v[65:66]
	;; [unrolled: 3-line block ×3, first 2 shown]
	v_add_f64 v[45:46], v[59:60], v[6:7]
	v_fma_f64 v[57:58], v[57:58], -0.5, v[0:1]
	v_add_f64 v[0:1], v[63:64], v[61:62]
	v_add_f64 v[63:64], v[4:5], v[73:74]
	v_fma_f64 v[33:34], v[55:56], s[4:5], v[33:34]
	v_fma_f64 v[37:38], v[55:56], s[4:5], v[37:38]
	;; [unrolled: 1-line block ×3, first 2 shown]
	v_add_f64 v[55:56], v[53:54], -v[51:52]
	v_add_f64 v[65:66], v[47:48], -v[61:62]
	v_add_f64 v[71:72], v[2:3], v[4:5]
	v_fma_f64 v[45:46], v[45:46], -0.5, v[2:3]
	v_add_f64 v[51:52], v[51:52], -v[61:62]
	v_fma_f64 v[41:42], v[43:44], s[16:17], v[41:42]
	v_add_f64 v[47:48], v[53:54], -v[47:48]
	v_fma_f64 v[2:3], v[63:64], -0.5, v[2:3]
	v_fma_f64 v[49:50], v[67:68], s[16:17], v[57:58]
	v_add_f64 v[53:54], v[55:56], v[65:66]
	v_fma_f64 v[55:56], v[67:68], s[8:9], v[57:58]
	v_add_f64 v[57:58], v[71:72], v[59:60]
	v_fma_f64 v[61:62], v[51:52], s[16:17], v[45:46]
	v_add_f64 v[63:64], v[4:5], -v[59:60]
	v_add_f64 v[65:66], v[73:74], -v[6:7]
	v_fma_f64 v[41:42], v[67:68], s[14:15], v[41:42]
	v_fma_f64 v[45:46], v[51:52], s[8:9], v[45:46]
	;; [unrolled: 1-line block ×3, first 2 shown]
	v_add_f64 v[4:5], v[59:60], -v[4:5]
	v_add_f64 v[59:60], v[6:7], -v[73:74]
	v_fma_f64 v[2:3], v[47:48], s[16:17], v[2:3]
	v_add_f64 v[6:7], v[57:58], v[6:7]
	v_fma_f64 v[57:58], v[47:48], s[14:15], v[61:62]
	v_add_f64 v[61:62], v[63:64], v[65:66]
	v_fma_f64 v[49:50], v[43:44], s[6:7], v[49:50]
	v_fma_f64 v[45:46], v[47:48], s[6:7], v[45:46]
	;; [unrolled: 1-line block ×3, first 2 shown]
	v_add_f64 v[59:60], v[4:5], v[59:60]
	v_fma_f64 v[55:56], v[43:44], s[14:15], v[55:56]
	v_fma_f64 v[51:52], v[51:52], s[6:7], v[2:3]
	v_add_f64 v[2:3], v[6:7], v[73:74]
	v_fma_f64 v[4:5], v[69:70], s[4:5], v[41:42]
	v_fma_f64 v[41:42], v[61:62], s[4:5], v[57:58]
	;; [unrolled: 1-line block ×7, first 2 shown]
	s_barrier
	ds_write_b128 v21, v[23:26]
	ds_write_b128 v21, v[17:20] offset:8000
	ds_write_b128 v21, v[31:34] offset:16000
	ds_write_b128 v21, v[35:38] offset:24000
	ds_write_b128 v21, v[27:30] offset:32000
	ds_write_b128 v22, v[0:3]
	ds_write_b128 v22, v[39:42] offset:8000
	ds_write_b128 v22, v[43:46] offset:16000
	;; [unrolled: 1-line block ×4, first 2 shown]
	s_waitcnt lgkmcnt(0)
	s_barrier
	ds_read_b128 v[4:7], v21
	s_add_u32 s6, s12, 0x9ba0
	s_addc_u32 s7, s13, 0
	v_sub_u32_e32 v23, 0, v11
                                        ; implicit-def: $vgpr0_vgpr1
                                        ; implicit-def: $vgpr17_vgpr18
                                        ; implicit-def: $vgpr19_vgpr20
	s_and_saveexec_b64 s[4:5], vcc
	s_xor_b64 s[4:5], exec, s[4:5]
	s_cbranch_execz .LBB0_15
; %bb.14:
	v_mov_b32_e32 v11, v16
	v_lshlrev_b64 v[0:1], 4, v[10:11]
	v_mov_b32_e32 v2, s7
	v_add_co_u32_e32 v0, vcc, s6, v0
	v_addc_co_u32_e32 v1, vcc, v2, v1, vcc
	global_load_dwordx4 v[15:18], v[0:1], off
	ds_read_b128 v[0:3], v23 offset:40000
	s_waitcnt lgkmcnt(0)
	v_add_f64 v[19:20], v[4:5], -v[0:1]
	v_add_f64 v[24:25], v[6:7], v[2:3]
	v_add_f64 v[2:3], v[6:7], -v[2:3]
	v_add_f64 v[0:1], v[4:5], v[0:1]
	v_mul_f64 v[6:7], v[19:20], 0.5
	v_mul_f64 v[4:5], v[24:25], 0.5
	;; [unrolled: 1-line block ×3, first 2 shown]
	s_waitcnt vmcnt(0)
	v_mul_f64 v[19:20], v[6:7], v[17:18]
	v_fma_f64 v[24:25], v[4:5], v[17:18], v[2:3]
	v_fma_f64 v[2:3], v[4:5], v[17:18], -v[2:3]
	v_fma_f64 v[26:27], v[0:1], 0.5, v[19:20]
	v_fma_f64 v[0:1], v[0:1], 0.5, -v[19:20]
	v_fma_f64 v[19:20], -v[15:16], v[6:7], v[24:25]
	v_fma_f64 v[2:3], -v[15:16], v[6:7], v[2:3]
	v_fma_f64 v[17:18], v[4:5], v[15:16], v[26:27]
	v_fma_f64 v[0:1], -v[4:5], v[15:16], v[0:1]
                                        ; implicit-def: $vgpr4_vgpr5
.LBB0_15:
	s_andn2_saveexec_b64 s[4:5], s[4:5]
	s_cbranch_execz .LBB0_17
; %bb.16:
	s_waitcnt lgkmcnt(0)
	v_add_f64 v[17:18], v[4:5], v[6:7]
	v_add_f64 v[0:1], v[4:5], -v[6:7]
	v_mov_b32_e32 v4, 0
	ds_read_b64 v[2:3], v4 offset:20008
	v_mov_b32_e32 v19, 0
	v_mov_b32_e32 v20, 0
	s_waitcnt lgkmcnt(0)
	v_xor_b32_e32 v3, 0x80000000, v3
	ds_write_b64 v4, v[2:3] offset:20008
	v_mov_b32_e32 v2, v19
	v_mov_b32_e32 v3, v20
.LBB0_17:
	s_or_b64 exec, exec, s[4:5]
	v_mov_b32_e32 v15, 0
	s_waitcnt lgkmcnt(0)
	v_lshlrev_b64 v[4:5], 4, v[14:15]
	v_mov_b32_e32 v6, s7
	v_add_co_u32_e32 v4, vcc, s6, v4
	v_addc_co_u32_e32 v5, vcc, v6, v5, vcc
	global_load_dwordx4 v[4:7], v[4:5], off
	v_add_u32_e32 v14, 0x1f4, v10
	v_lshlrev_b64 v[24:25], 4, v[14:15]
	v_mov_b32_e32 v11, s7
	v_add_co_u32_e32 v24, vcc, s6, v24
	v_addc_co_u32_e32 v25, vcc, v11, v25, vcc
	global_load_dwordx4 v[24:27], v[24:25], off
	ds_write2_b64 v21, v[17:18], v[19:20] offset1:1
	ds_write_b128 v23, v[0:3] offset:40000
	ds_read_b128 v[0:3], v22
	ds_read_b128 v[16:19], v23 offset:36000
	v_add_u32_e32 v14, 0x2ee, v10
	s_waitcnt lgkmcnt(0)
	v_add_f64 v[28:29], v[0:1], -v[16:17]
	v_add_f64 v[30:31], v[2:3], v[18:19]
	v_add_f64 v[2:3], v[2:3], -v[18:19]
	v_add_f64 v[0:1], v[0:1], v[16:17]
	v_mul_f64 v[18:19], v[28:29], 0.5
	v_mul_f64 v[28:29], v[30:31], 0.5
	;; [unrolled: 1-line block ×3, first 2 shown]
	v_lshlrev_b64 v[30:31], 4, v[14:15]
	v_add_u32_e32 v14, 0x3e8, v10
	s_waitcnt vmcnt(1)
	v_mul_f64 v[16:17], v[18:19], v[6:7]
	v_fma_f64 v[32:33], v[28:29], v[6:7], v[2:3]
	v_fma_f64 v[6:7], v[28:29], v[6:7], -v[2:3]
	v_fma_f64 v[34:35], v[0:1], 0.5, v[16:17]
	v_fma_f64 v[16:17], v[0:1], 0.5, -v[16:17]
	v_add_co_u32_e32 v0, vcc, s6, v30
	v_addc_co_u32_e32 v1, vcc, v11, v31, vcc
	global_load_dwordx4 v[0:3], v[0:1], off
	v_fma_f64 v[30:31], -v[4:5], v[18:19], v[32:33]
	v_fma_f64 v[6:7], -v[4:5], v[18:19], v[6:7]
	v_fma_f64 v[18:19], v[28:29], v[4:5], v[34:35]
	v_fma_f64 v[4:5], -v[28:29], v[4:5], v[16:17]
	ds_write2_b64 v22, v[18:19], v[30:31] offset1:1
	ds_write_b128 v23, v[4:7] offset:36000
	ds_read_b128 v[4:7], v21 offset:8000
	ds_read_b128 v[16:19], v23 offset:32000
	s_waitcnt lgkmcnt(0)
	v_add_f64 v[28:29], v[4:5], -v[16:17]
	v_add_f64 v[30:31], v[6:7], v[18:19]
	v_add_f64 v[6:7], v[6:7], -v[18:19]
	v_add_f64 v[4:5], v[4:5], v[16:17]
	v_mul_f64 v[18:19], v[28:29], 0.5
	v_mul_f64 v[28:29], v[30:31], 0.5
	;; [unrolled: 1-line block ×3, first 2 shown]
	v_lshlrev_b64 v[30:31], 4, v[14:15]
	s_waitcnt vmcnt(1)
	v_mul_f64 v[16:17], v[18:19], v[26:27]
	v_fma_f64 v[32:33], v[28:29], v[26:27], v[6:7]
	v_fma_f64 v[26:27], v[28:29], v[26:27], -v[6:7]
	v_fma_f64 v[34:35], v[4:5], 0.5, v[16:17]
	v_fma_f64 v[16:17], v[4:5], 0.5, -v[16:17]
	v_add_co_u32_e32 v4, vcc, s6, v30
	v_addc_co_u32_e32 v5, vcc, v11, v31, vcc
	global_load_dwordx4 v[4:7], v[4:5], off
	v_fma_f64 v[30:31], -v[24:25], v[18:19], v[32:33]
	v_fma_f64 v[18:19], -v[24:25], v[18:19], v[26:27]
	v_fma_f64 v[26:27], v[28:29], v[24:25], v[34:35]
	v_fma_f64 v[16:17], -v[28:29], v[24:25], v[16:17]
	v_add_u32_e32 v11, 0x1800, v21
	ds_write2_b64 v11, v[26:27], v[30:31] offset0:232 offset1:233
	ds_write_b128 v23, v[16:19] offset:32000
	ds_read_b128 v[16:19], v21 offset:12000
	ds_read_b128 v[24:27], v23 offset:28000
	v_add_u32_e32 v11, 0x2800, v21
	s_waitcnt lgkmcnt(0)
	v_add_f64 v[28:29], v[16:17], -v[24:25]
	v_add_f64 v[30:31], v[18:19], v[26:27]
	v_add_f64 v[18:19], v[18:19], -v[26:27]
	v_add_f64 v[16:17], v[16:17], v[24:25]
	v_mul_f64 v[26:27], v[28:29], 0.5
	v_mul_f64 v[28:29], v[30:31], 0.5
	;; [unrolled: 1-line block ×3, first 2 shown]
	s_waitcnt vmcnt(1)
	v_mul_f64 v[24:25], v[26:27], v[2:3]
	v_fma_f64 v[30:31], v[28:29], v[2:3], v[18:19]
	v_fma_f64 v[2:3], v[28:29], v[2:3], -v[18:19]
	v_fma_f64 v[18:19], v[16:17], 0.5, v[24:25]
	v_fma_f64 v[16:17], v[16:17], 0.5, -v[24:25]
	v_fma_f64 v[24:25], -v[0:1], v[26:27], v[30:31]
	v_fma_f64 v[2:3], -v[0:1], v[26:27], v[2:3]
	v_fma_f64 v[18:19], v[28:29], v[0:1], v[18:19]
	v_fma_f64 v[0:1], -v[28:29], v[0:1], v[16:17]
	ds_write2_b64 v11, v[18:19], v[24:25] offset0:220 offset1:221
	ds_write_b128 v23, v[0:3] offset:28000
	ds_read_b128 v[0:3], v21 offset:16000
	ds_read_b128 v[16:19], v23 offset:24000
	s_waitcnt lgkmcnt(0)
	v_add_f64 v[24:25], v[0:1], -v[16:17]
	v_add_f64 v[26:27], v[2:3], v[18:19]
	v_add_f64 v[2:3], v[2:3], -v[18:19]
	v_add_f64 v[0:1], v[0:1], v[16:17]
	v_mul_f64 v[18:19], v[24:25], 0.5
	v_mul_f64 v[24:25], v[26:27], 0.5
	;; [unrolled: 1-line block ×3, first 2 shown]
	s_waitcnt vmcnt(0)
	v_mul_f64 v[16:17], v[18:19], v[6:7]
	v_fma_f64 v[26:27], v[24:25], v[6:7], v[2:3]
	v_fma_f64 v[2:3], v[24:25], v[6:7], -v[2:3]
	v_fma_f64 v[6:7], v[0:1], 0.5, v[16:17]
	v_fma_f64 v[0:1], v[0:1], 0.5, -v[16:17]
	v_fma_f64 v[16:17], -v[4:5], v[18:19], v[26:27]
	v_fma_f64 v[2:3], -v[4:5], v[18:19], v[2:3]
	v_fma_f64 v[6:7], v[24:25], v[4:5], v[6:7]
	v_fma_f64 v[0:1], -v[24:25], v[4:5], v[0:1]
	v_add_u32_e32 v4, 0x3800, v21
	ds_write2_b64 v4, v[6:7], v[16:17] offset0:208 offset1:209
	ds_write_b128 v23, v[0:3] offset:24000
	s_waitcnt lgkmcnt(0)
	s_barrier
	s_and_saveexec_b64 s[4:5], s[0:1]
	s_cbranch_execz .LBB0_20
; %bb.18:
	v_mul_lo_u32 v2, s3, v12
	v_mul_lo_u32 v3, s2, v13
	v_mad_u64_u32 v[0:1], s[0:1], s2, v12, 0
	v_mov_b32_e32 v6, s11
	v_lshl_add_u32 v13, v10, 4, 0
	v_add3_u32 v1, v1, v3, v2
	v_lshlrev_b64 v[0:1], 4, v[0:1]
	v_mov_b32_e32 v11, v15
	v_add_co_u32_e32 v0, vcc, s10, v0
	v_addc_co_u32_e32 v12, vcc, v6, v1, vcc
	v_lshlrev_b64 v[6:7], 4, v[8:9]
	ds_read_b128 v[2:5], v13
	v_add_co_u32_e32 v1, vcc, v0, v6
	v_addc_co_u32_e32 v0, vcc, v12, v7, vcc
	v_lshlrev_b64 v[6:7], 4, v[10:11]
	v_add_u32_e32 v14, 0xfa, v10
	v_add_co_u32_e32 v11, vcc, v1, v6
	v_addc_co_u32_e32 v12, vcc, v0, v7, vcc
	ds_read_b128 v[6:9], v13 offset:36000
	s_waitcnt lgkmcnt(1)
	global_store_dwordx4 v[11:12], v[2:5], off
	ds_read_b128 v[2:5], v13 offset:4000
	ds_read_b128 v[16:19], v13 offset:8000
	v_lshlrev_b64 v[11:12], 4, v[14:15]
	v_add_u32_e32 v14, 0x1f4, v10
	v_add_co_u32_e32 v11, vcc, v1, v11
	v_addc_co_u32_e32 v12, vcc, v0, v12, vcc
	s_waitcnt lgkmcnt(1)
	global_store_dwordx4 v[11:12], v[2:5], off
	s_movk_i32 s0, 0xf9
	v_lshlrev_b64 v[2:3], 4, v[14:15]
	v_add_u32_e32 v14, 0x2ee, v10
	v_add_co_u32_e32 v2, vcc, v1, v2
	v_addc_co_u32_e32 v3, vcc, v0, v3, vcc
	s_waitcnt lgkmcnt(0)
	global_store_dwordx4 v[2:3], v[16:19], off
	ds_read_b128 v[2:5], v13 offset:12000
	ds_read_b128 v[16:19], v13 offset:16000
	v_lshlrev_b64 v[11:12], 4, v[14:15]
	v_add_u32_e32 v14, 0x3e8, v10
	v_add_co_u32_e32 v11, vcc, v1, v11
	v_addc_co_u32_e32 v12, vcc, v0, v12, vcc
	s_waitcnt lgkmcnt(1)
	global_store_dwordx4 v[11:12], v[2:5], off
	s_nop 0
	v_lshlrev_b64 v[2:3], 4, v[14:15]
	v_add_u32_e32 v14, 0x4e2, v10
	v_add_co_u32_e32 v2, vcc, v1, v2
	v_addc_co_u32_e32 v3, vcc, v0, v3, vcc
	s_waitcnt lgkmcnt(0)
	global_store_dwordx4 v[2:3], v[16:19], off
	ds_read_b128 v[2:5], v13 offset:20000
	ds_read_b128 v[16:19], v13 offset:24000
	v_lshlrev_b64 v[11:12], 4, v[14:15]
	v_add_u32_e32 v14, 0x5dc, v10
	v_add_co_u32_e32 v11, vcc, v1, v11
	v_addc_co_u32_e32 v12, vcc, v0, v12, vcc
	s_waitcnt lgkmcnt(1)
	global_store_dwordx4 v[11:12], v[2:5], off
	s_nop 0
	;; [unrolled: 15-line block ×3, first 2 shown]
	v_lshlrev_b64 v[2:3], 4, v[14:15]
	v_add_u32_e32 v14, 0x8ca, v10
	v_add_co_u32_e32 v2, vcc, v1, v2
	v_addc_co_u32_e32 v3, vcc, v0, v3, vcc
	s_waitcnt lgkmcnt(0)
	global_store_dwordx4 v[2:3], v[16:19], off
	v_lshlrev_b64 v[2:3], 4, v[14:15]
	v_add_co_u32_e32 v2, vcc, v1, v2
	v_addc_co_u32_e32 v3, vcc, v0, v3, vcc
	v_cmp_eq_u32_e32 vcc, s0, v10
	global_store_dwordx4 v[2:3], v[6:9], off
	s_and_b64 exec, exec, vcc
	s_cbranch_execz .LBB0_20
; %bb.19:
	v_mov_b32_e32 v2, 0
	ds_read_b128 v[2:5], v2 offset:40000
	v_add_co_u32_e32 v6, vcc, 0x9000, v1
	v_addc_co_u32_e32 v7, vcc, 0, v0, vcc
	s_waitcnt lgkmcnt(0)
	global_store_dwordx4 v[6:7], v[2:5], off offset:3136
.LBB0_20:
	s_endpgm
	.section	.rodata,"a",@progbits
	.p2align	6, 0x0
	.amdhsa_kernel fft_rtc_fwd_len2500_factors_10_5_10_5_wgs_250_tpt_250_halfLds_dp_op_CI_CI_unitstride_sbrr_R2C_dirReg
		.amdhsa_group_segment_fixed_size 0
		.amdhsa_private_segment_fixed_size 0
		.amdhsa_kernarg_size 104
		.amdhsa_user_sgpr_count 6
		.amdhsa_user_sgpr_private_segment_buffer 1
		.amdhsa_user_sgpr_dispatch_ptr 0
		.amdhsa_user_sgpr_queue_ptr 0
		.amdhsa_user_sgpr_kernarg_segment_ptr 1
		.amdhsa_user_sgpr_dispatch_id 0
		.amdhsa_user_sgpr_flat_scratch_init 0
		.amdhsa_user_sgpr_private_segment_size 0
		.amdhsa_uses_dynamic_stack 0
		.amdhsa_system_sgpr_private_segment_wavefront_offset 0
		.amdhsa_system_sgpr_workgroup_id_x 1
		.amdhsa_system_sgpr_workgroup_id_y 0
		.amdhsa_system_sgpr_workgroup_id_z 0
		.amdhsa_system_sgpr_workgroup_info 0
		.amdhsa_system_vgpr_workitem_id 0
		.amdhsa_next_free_vgpr 83
		.amdhsa_next_free_sgpr 28
		.amdhsa_reserve_vcc 1
		.amdhsa_reserve_flat_scratch 0
		.amdhsa_float_round_mode_32 0
		.amdhsa_float_round_mode_16_64 0
		.amdhsa_float_denorm_mode_32 3
		.amdhsa_float_denorm_mode_16_64 3
		.amdhsa_dx10_clamp 1
		.amdhsa_ieee_mode 1
		.amdhsa_fp16_overflow 0
		.amdhsa_exception_fp_ieee_invalid_op 0
		.amdhsa_exception_fp_denorm_src 0
		.amdhsa_exception_fp_ieee_div_zero 0
		.amdhsa_exception_fp_ieee_overflow 0
		.amdhsa_exception_fp_ieee_underflow 0
		.amdhsa_exception_fp_ieee_inexact 0
		.amdhsa_exception_int_div_zero 0
	.end_amdhsa_kernel
	.text
.Lfunc_end0:
	.size	fft_rtc_fwd_len2500_factors_10_5_10_5_wgs_250_tpt_250_halfLds_dp_op_CI_CI_unitstride_sbrr_R2C_dirReg, .Lfunc_end0-fft_rtc_fwd_len2500_factors_10_5_10_5_wgs_250_tpt_250_halfLds_dp_op_CI_CI_unitstride_sbrr_R2C_dirReg
                                        ; -- End function
	.section	.AMDGPU.csdata,"",@progbits
; Kernel info:
; codeLenInByte = 9720
; NumSgprs: 32
; NumVgprs: 83
; ScratchSize: 0
; MemoryBound: 0
; FloatMode: 240
; IeeeMode: 1
; LDSByteSize: 0 bytes/workgroup (compile time only)
; SGPRBlocks: 3
; VGPRBlocks: 20
; NumSGPRsForWavesPerEU: 32
; NumVGPRsForWavesPerEU: 83
; Occupancy: 3
; WaveLimiterHint : 1
; COMPUTE_PGM_RSRC2:SCRATCH_EN: 0
; COMPUTE_PGM_RSRC2:USER_SGPR: 6
; COMPUTE_PGM_RSRC2:TRAP_HANDLER: 0
; COMPUTE_PGM_RSRC2:TGID_X_EN: 1
; COMPUTE_PGM_RSRC2:TGID_Y_EN: 0
; COMPUTE_PGM_RSRC2:TGID_Z_EN: 0
; COMPUTE_PGM_RSRC2:TIDIG_COMP_CNT: 0
	.type	__hip_cuid_6d1727771e1ce481,@object ; @__hip_cuid_6d1727771e1ce481
	.section	.bss,"aw",@nobits
	.globl	__hip_cuid_6d1727771e1ce481
__hip_cuid_6d1727771e1ce481:
	.byte	0                               ; 0x0
	.size	__hip_cuid_6d1727771e1ce481, 1

	.ident	"AMD clang version 19.0.0git (https://github.com/RadeonOpenCompute/llvm-project roc-6.4.0 25133 c7fe45cf4b819c5991fe208aaa96edf142730f1d)"
	.section	".note.GNU-stack","",@progbits
	.addrsig
	.addrsig_sym __hip_cuid_6d1727771e1ce481
	.amdgpu_metadata
---
amdhsa.kernels:
  - .args:
      - .actual_access:  read_only
        .address_space:  global
        .offset:         0
        .size:           8
        .value_kind:     global_buffer
      - .offset:         8
        .size:           8
        .value_kind:     by_value
      - .actual_access:  read_only
        .address_space:  global
        .offset:         16
        .size:           8
        .value_kind:     global_buffer
      - .actual_access:  read_only
        .address_space:  global
        .offset:         24
        .size:           8
        .value_kind:     global_buffer
      - .actual_access:  read_only
        .address_space:  global
        .offset:         32
        .size:           8
        .value_kind:     global_buffer
      - .offset:         40
        .size:           8
        .value_kind:     by_value
      - .actual_access:  read_only
        .address_space:  global
        .offset:         48
        .size:           8
        .value_kind:     global_buffer
      - .actual_access:  read_only
        .address_space:  global
        .offset:         56
        .size:           8
        .value_kind:     global_buffer
      - .offset:         64
        .size:           4
        .value_kind:     by_value
      - .actual_access:  read_only
        .address_space:  global
        .offset:         72
        .size:           8
        .value_kind:     global_buffer
      - .actual_access:  read_only
        .address_space:  global
        .offset:         80
        .size:           8
        .value_kind:     global_buffer
      - .actual_access:  read_only
        .address_space:  global
        .offset:         88
        .size:           8
        .value_kind:     global_buffer
      - .actual_access:  write_only
        .address_space:  global
        .offset:         96
        .size:           8
        .value_kind:     global_buffer
    .group_segment_fixed_size: 0
    .kernarg_segment_align: 8
    .kernarg_segment_size: 104
    .language:       OpenCL C
    .language_version:
      - 2
      - 0
    .max_flat_workgroup_size: 250
    .name:           fft_rtc_fwd_len2500_factors_10_5_10_5_wgs_250_tpt_250_halfLds_dp_op_CI_CI_unitstride_sbrr_R2C_dirReg
    .private_segment_fixed_size: 0
    .sgpr_count:     32
    .sgpr_spill_count: 0
    .symbol:         fft_rtc_fwd_len2500_factors_10_5_10_5_wgs_250_tpt_250_halfLds_dp_op_CI_CI_unitstride_sbrr_R2C_dirReg.kd
    .uniform_work_group_size: 1
    .uses_dynamic_stack: false
    .vgpr_count:     83
    .vgpr_spill_count: 0
    .wavefront_size: 64
amdhsa.target:   amdgcn-amd-amdhsa--gfx906
amdhsa.version:
  - 1
  - 2
...

	.end_amdgpu_metadata
